;; amdgpu-corpus repo=ROCm/rocFFT kind=compiled arch=gfx1201 opt=O3
	.text
	.amdgcn_target "amdgcn-amd-amdhsa--gfx1201"
	.amdhsa_code_object_version 6
	.protected	fft_rtc_back_len297_factors_9_3_11_wgs_231_tpt_33_halfLds_sp_op_CI_CI_unitstride_sbrr_dirReg ; -- Begin function fft_rtc_back_len297_factors_9_3_11_wgs_231_tpt_33_halfLds_sp_op_CI_CI_unitstride_sbrr_dirReg
	.globl	fft_rtc_back_len297_factors_9_3_11_wgs_231_tpt_33_halfLds_sp_op_CI_CI_unitstride_sbrr_dirReg
	.p2align	8
	.type	fft_rtc_back_len297_factors_9_3_11_wgs_231_tpt_33_halfLds_sp_op_CI_CI_unitstride_sbrr_dirReg,@function
fft_rtc_back_len297_factors_9_3_11_wgs_231_tpt_33_halfLds_sp_op_CI_CI_unitstride_sbrr_dirReg: ; @fft_rtc_back_len297_factors_9_3_11_wgs_231_tpt_33_halfLds_sp_op_CI_CI_unitstride_sbrr_dirReg
; %bb.0:
	s_load_b128 s[8:11], s[0:1], 0x0
	v_mul_u32_u24_e32 v1, 0x7c2, v0
	s_clause 0x1
	s_load_b128 s[4:7], s[0:1], 0x58
	s_load_b128 s[12:15], s[0:1], 0x18
	v_dual_mov_b32 v3, 0 :: v_dual_mov_b32 v8, 0
	v_lshrrev_b32_e32 v1, 16, v1
	s_delay_alu instid0(VALU_DEP_1) | instskip(NEXT) | instid1(VALU_DEP_3)
	v_mad_co_u64_u32 v[6:7], null, ttmp9, 7, v[1:2]
	v_mov_b32_e32 v7, v3
	s_delay_alu instid0(VALU_DEP_2) | instskip(SKIP_2) | instid1(VALU_DEP_2)
	v_dual_mov_b32 v9, 0 :: v_dual_mov_b32 v4, v6
	s_wait_kmcnt 0x0
	v_cmp_lt_u64_e64 s2, s[10:11], 2
	v_dual_mov_b32 v1, v8 :: v_dual_mov_b32 v2, v9
	v_mov_b32_e32 v5, v7
	s_delay_alu instid0(VALU_DEP_3)
	s_and_b32 vcc_lo, exec_lo, s2
	s_cbranch_vccnz .LBB0_8
; %bb.1:
	s_load_b64 s[2:3], s[0:1], 0x10
	v_dual_mov_b32 v8, 0 :: v_dual_mov_b32 v11, v7
	v_dual_mov_b32 v9, 0 :: v_dual_mov_b32 v10, v6
	s_delay_alu instid0(VALU_DEP_2) | instskip(SKIP_2) | instid1(VALU_DEP_2)
	v_mov_b32_e32 v1, v8
	s_add_nc_u64 s[16:17], s[14:15], 8
	s_add_nc_u64 s[18:19], s[12:13], 8
	v_mov_b32_e32 v2, v9
	s_mov_b64 s[20:21], 1
	s_wait_kmcnt 0x0
	s_add_nc_u64 s[22:23], s[2:3], 8
	s_mov_b32 s3, 0
.LBB0_2:                                ; =>This Inner Loop Header: Depth=1
	s_load_b64 s[24:25], s[22:23], 0x0
	s_wait_kmcnt 0x0
	s_delay_alu instid0(VALU_DEP_1) | instskip(NEXT) | instid1(VALU_DEP_1)
	v_or_b32_e32 v4, s25, v11
	v_cmp_ne_u64_e32 vcc_lo, 0, v[3:4]
                                        ; implicit-def: $vgpr4_vgpr5
	s_and_saveexec_b32 s2, vcc_lo
	s_wait_alu 0xfffe
	s_xor_b32 s26, exec_lo, s2
	s_cbranch_execz .LBB0_4
; %bb.3:                                ;   in Loop: Header=BB0_2 Depth=1
	s_cvt_f32_u32 s2, s24
	s_cvt_f32_u32 s27, s25
	s_sub_nc_u64 s[30:31], 0, s[24:25]
	s_wait_alu 0xfffe
	s_delay_alu instid0(SALU_CYCLE_1) | instskip(SKIP_1) | instid1(SALU_CYCLE_2)
	s_fmamk_f32 s2, s27, 0x4f800000, s2
	s_wait_alu 0xfffe
	v_s_rcp_f32 s2, s2
	s_delay_alu instid0(TRANS32_DEP_1) | instskip(SKIP_1) | instid1(SALU_CYCLE_2)
	s_mul_f32 s2, s2, 0x5f7ffffc
	s_wait_alu 0xfffe
	s_mul_f32 s27, s2, 0x2f800000
	s_wait_alu 0xfffe
	s_delay_alu instid0(SALU_CYCLE_2) | instskip(SKIP_1) | instid1(SALU_CYCLE_2)
	s_trunc_f32 s27, s27
	s_wait_alu 0xfffe
	s_fmamk_f32 s2, s27, 0xcf800000, s2
	s_cvt_u32_f32 s29, s27
	s_wait_alu 0xfffe
	s_delay_alu instid0(SALU_CYCLE_1) | instskip(SKIP_1) | instid1(SALU_CYCLE_2)
	s_cvt_u32_f32 s28, s2
	s_wait_alu 0xfffe
	s_mul_u64 s[34:35], s[30:31], s[28:29]
	s_wait_alu 0xfffe
	s_mul_hi_u32 s37, s28, s35
	s_mul_i32 s36, s28, s35
	s_mul_hi_u32 s2, s28, s34
	s_mul_i32 s33, s29, s34
	s_wait_alu 0xfffe
	s_add_nc_u64 s[36:37], s[2:3], s[36:37]
	s_mul_hi_u32 s27, s29, s34
	s_mul_hi_u32 s38, s29, s35
	s_add_co_u32 s2, s36, s33
	s_wait_alu 0xfffe
	s_add_co_ci_u32 s2, s37, s27
	s_mul_i32 s34, s29, s35
	s_add_co_ci_u32 s35, s38, 0
	s_wait_alu 0xfffe
	s_add_nc_u64 s[34:35], s[2:3], s[34:35]
	s_wait_alu 0xfffe
	v_add_co_u32 v4, s2, s28, s34
	s_delay_alu instid0(VALU_DEP_1) | instskip(SKIP_1) | instid1(VALU_DEP_1)
	s_cmp_lg_u32 s2, 0
	s_add_co_ci_u32 s29, s29, s35
	v_readfirstlane_b32 s28, v4
	s_wait_alu 0xfffe
	s_delay_alu instid0(VALU_DEP_1)
	s_mul_u64 s[30:31], s[30:31], s[28:29]
	s_wait_alu 0xfffe
	s_mul_hi_u32 s35, s28, s31
	s_mul_i32 s34, s28, s31
	s_mul_hi_u32 s2, s28, s30
	s_mul_i32 s33, s29, s30
	s_wait_alu 0xfffe
	s_add_nc_u64 s[34:35], s[2:3], s[34:35]
	s_mul_hi_u32 s27, s29, s30
	s_mul_hi_u32 s28, s29, s31
	s_wait_alu 0xfffe
	s_add_co_u32 s2, s34, s33
	s_add_co_ci_u32 s2, s35, s27
	s_mul_i32 s30, s29, s31
	s_add_co_ci_u32 s31, s28, 0
	s_wait_alu 0xfffe
	s_add_nc_u64 s[30:31], s[2:3], s[30:31]
	s_wait_alu 0xfffe
	v_add_co_u32 v7, s2, v4, s30
	s_delay_alu instid0(VALU_DEP_1) | instskip(SKIP_1) | instid1(VALU_DEP_1)
	s_cmp_lg_u32 s2, 0
	s_add_co_ci_u32 s2, s29, s31
	v_mul_hi_u32 v16, v10, v7
	s_wait_alu 0xfffe
	v_mad_co_u64_u32 v[4:5], null, v10, s2, 0
	v_mad_co_u64_u32 v[12:13], null, v11, v7, 0
	;; [unrolled: 1-line block ×3, first 2 shown]
	s_delay_alu instid0(VALU_DEP_3) | instskip(SKIP_1) | instid1(VALU_DEP_4)
	v_add_co_u32 v4, vcc_lo, v16, v4
	s_wait_alu 0xfffd
	v_add_co_ci_u32_e32 v5, vcc_lo, 0, v5, vcc_lo
	s_delay_alu instid0(VALU_DEP_2) | instskip(SKIP_1) | instid1(VALU_DEP_2)
	v_add_co_u32 v4, vcc_lo, v4, v12
	s_wait_alu 0xfffd
	v_add_co_ci_u32_e32 v4, vcc_lo, v5, v13, vcc_lo
	s_wait_alu 0xfffd
	v_add_co_ci_u32_e32 v5, vcc_lo, 0, v15, vcc_lo
	s_delay_alu instid0(VALU_DEP_2) | instskip(SKIP_1) | instid1(VALU_DEP_2)
	v_add_co_u32 v7, vcc_lo, v4, v14
	s_wait_alu 0xfffd
	v_add_co_ci_u32_e32 v12, vcc_lo, 0, v5, vcc_lo
	s_delay_alu instid0(VALU_DEP_2) | instskip(SKIP_1) | instid1(VALU_DEP_3)
	v_mul_lo_u32 v13, s25, v7
	v_mad_co_u64_u32 v[4:5], null, s24, v7, 0
	v_mul_lo_u32 v14, s24, v12
	s_delay_alu instid0(VALU_DEP_2) | instskip(NEXT) | instid1(VALU_DEP_2)
	v_sub_co_u32 v4, vcc_lo, v10, v4
	v_add3_u32 v5, v5, v14, v13
	s_delay_alu instid0(VALU_DEP_1) | instskip(SKIP_1) | instid1(VALU_DEP_1)
	v_sub_nc_u32_e32 v13, v11, v5
	s_wait_alu 0xfffd
	v_subrev_co_ci_u32_e64 v13, s2, s25, v13, vcc_lo
	v_add_co_u32 v14, s2, v7, 2
	s_wait_alu 0xf1ff
	v_add_co_ci_u32_e64 v15, s2, 0, v12, s2
	v_sub_co_u32 v16, s2, v4, s24
	v_sub_co_ci_u32_e32 v5, vcc_lo, v11, v5, vcc_lo
	s_wait_alu 0xf1ff
	v_subrev_co_ci_u32_e64 v13, s2, 0, v13, s2
	s_delay_alu instid0(VALU_DEP_3) | instskip(NEXT) | instid1(VALU_DEP_3)
	v_cmp_le_u32_e32 vcc_lo, s24, v16
	v_cmp_eq_u32_e64 s2, s25, v5
	s_wait_alu 0xfffd
	v_cndmask_b32_e64 v16, 0, -1, vcc_lo
	v_cmp_le_u32_e32 vcc_lo, s25, v13
	s_wait_alu 0xfffd
	v_cndmask_b32_e64 v17, 0, -1, vcc_lo
	v_cmp_le_u32_e32 vcc_lo, s24, v4
	;; [unrolled: 3-line block ×3, first 2 shown]
	s_wait_alu 0xfffd
	v_cndmask_b32_e64 v18, 0, -1, vcc_lo
	v_cmp_eq_u32_e32 vcc_lo, s25, v13
	s_wait_alu 0xf1ff
	s_delay_alu instid0(VALU_DEP_2)
	v_cndmask_b32_e64 v4, v18, v4, s2
	s_wait_alu 0xfffd
	v_cndmask_b32_e32 v13, v17, v16, vcc_lo
	v_add_co_u32 v16, vcc_lo, v7, 1
	s_wait_alu 0xfffd
	v_add_co_ci_u32_e32 v17, vcc_lo, 0, v12, vcc_lo
	s_delay_alu instid0(VALU_DEP_3) | instskip(SKIP_2) | instid1(VALU_DEP_3)
	v_cmp_ne_u32_e32 vcc_lo, 0, v13
	s_wait_alu 0xfffd
	v_cndmask_b32_e32 v13, v16, v14, vcc_lo
	v_cndmask_b32_e32 v5, v17, v15, vcc_lo
	v_cmp_ne_u32_e32 vcc_lo, 0, v4
	s_wait_alu 0xfffd
	s_delay_alu instid0(VALU_DEP_3) | instskip(NEXT) | instid1(VALU_DEP_3)
	v_cndmask_b32_e32 v4, v7, v13, vcc_lo
	v_cndmask_b32_e32 v5, v12, v5, vcc_lo
.LBB0_4:                                ;   in Loop: Header=BB0_2 Depth=1
	s_wait_alu 0xfffe
	s_and_not1_saveexec_b32 s2, s26
	s_cbranch_execz .LBB0_6
; %bb.5:                                ;   in Loop: Header=BB0_2 Depth=1
	v_cvt_f32_u32_e32 v4, s24
	s_sub_co_i32 s26, 0, s24
	s_delay_alu instid0(VALU_DEP_1) | instskip(NEXT) | instid1(TRANS32_DEP_1)
	v_rcp_iflag_f32_e32 v4, v4
	v_mul_f32_e32 v4, 0x4f7ffffe, v4
	s_delay_alu instid0(VALU_DEP_1) | instskip(SKIP_1) | instid1(VALU_DEP_1)
	v_cvt_u32_f32_e32 v4, v4
	s_wait_alu 0xfffe
	v_mul_lo_u32 v5, s26, v4
	s_delay_alu instid0(VALU_DEP_1) | instskip(NEXT) | instid1(VALU_DEP_1)
	v_mul_hi_u32 v5, v4, v5
	v_add_nc_u32_e32 v4, v4, v5
	s_delay_alu instid0(VALU_DEP_1) | instskip(NEXT) | instid1(VALU_DEP_1)
	v_mul_hi_u32 v4, v10, v4
	v_mul_lo_u32 v5, v4, s24
	v_add_nc_u32_e32 v7, 1, v4
	s_delay_alu instid0(VALU_DEP_2) | instskip(NEXT) | instid1(VALU_DEP_1)
	v_sub_nc_u32_e32 v5, v10, v5
	v_subrev_nc_u32_e32 v12, s24, v5
	v_cmp_le_u32_e32 vcc_lo, s24, v5
	s_wait_alu 0xfffd
	s_delay_alu instid0(VALU_DEP_2) | instskip(NEXT) | instid1(VALU_DEP_1)
	v_dual_cndmask_b32 v5, v5, v12 :: v_dual_cndmask_b32 v4, v4, v7
	v_cmp_le_u32_e32 vcc_lo, s24, v5
	s_delay_alu instid0(VALU_DEP_2) | instskip(SKIP_1) | instid1(VALU_DEP_1)
	v_add_nc_u32_e32 v7, 1, v4
	s_wait_alu 0xfffd
	v_dual_mov_b32 v5, v3 :: v_dual_cndmask_b32 v4, v4, v7
.LBB0_6:                                ;   in Loop: Header=BB0_2 Depth=1
	s_wait_alu 0xfffe
	s_or_b32 exec_lo, exec_lo, s2
	s_delay_alu instid0(VALU_DEP_1) | instskip(NEXT) | instid1(VALU_DEP_2)
	v_mul_lo_u32 v7, v5, s24
	v_mul_lo_u32 v14, v4, s25
	s_load_b64 s[26:27], s[18:19], 0x0
	v_mad_co_u64_u32 v[12:13], null, v4, s24, 0
	s_load_b64 s[24:25], s[16:17], 0x0
	s_add_nc_u64 s[20:21], s[20:21], 1
	s_add_nc_u64 s[16:17], s[16:17], 8
	s_wait_alu 0xfffe
	v_cmp_ge_u64_e64 s2, s[20:21], s[10:11]
	s_add_nc_u64 s[18:19], s[18:19], 8
	s_add_nc_u64 s[22:23], s[22:23], 8
	v_add3_u32 v7, v13, v14, v7
	v_sub_co_u32 v10, vcc_lo, v10, v12
	s_wait_alu 0xfffd
	s_delay_alu instid0(VALU_DEP_2) | instskip(SKIP_2) | instid1(VALU_DEP_1)
	v_sub_co_ci_u32_e32 v7, vcc_lo, v11, v7, vcc_lo
	s_and_b32 vcc_lo, exec_lo, s2
	s_wait_kmcnt 0x0
	v_mul_lo_u32 v11, s26, v7
	v_mul_lo_u32 v12, s27, v10
	v_mad_co_u64_u32 v[8:9], null, s26, v10, v[8:9]
	v_mul_lo_u32 v7, s24, v7
	v_mul_lo_u32 v13, s25, v10
	v_mad_co_u64_u32 v[1:2], null, s24, v10, v[1:2]
	s_delay_alu instid0(VALU_DEP_4) | instskip(NEXT) | instid1(VALU_DEP_2)
	v_add3_u32 v9, v12, v9, v11
	v_add3_u32 v2, v13, v2, v7
	s_wait_alu 0xfffe
	s_cbranch_vccnz .LBB0_8
; %bb.7:                                ;   in Loop: Header=BB0_2 Depth=1
	v_dual_mov_b32 v11, v5 :: v_dual_mov_b32 v10, v4
	s_branch .LBB0_2
.LBB0_8:
	s_load_b64 s[0:1], s[0:1], 0x28
	v_mul_hi_u32 v7, 0x7c1f07d, v0
	s_lshl_b64 s[10:11], s[10:11], 3
                                        ; implicit-def: $sgpr2_sgpr3
                                        ; implicit-def: $vgpr3
	s_wait_kmcnt 0x0
	v_cmp_gt_u64_e32 vcc_lo, s[0:1], v[4:5]
	v_cmp_le_u64_e64 s0, s[0:1], v[4:5]
	s_delay_alu instid0(VALU_DEP_1)
	s_and_saveexec_b32 s1, s0
	s_wait_alu 0xfffe
	s_xor_b32 s0, exec_lo, s1
; %bb.9:
	v_mul_u32_u24_e32 v3, 33, v7
	s_mov_b64 s[2:3], 0
                                        ; implicit-def: $vgpr7
                                        ; implicit-def: $vgpr8_vgpr9
	s_delay_alu instid0(VALU_DEP_1)
	v_sub_nc_u32_e32 v3, v0, v3
                                        ; implicit-def: $vgpr0
; %bb.10:
	s_wait_alu 0xfffe
	s_or_saveexec_b32 s1, s0
	v_dual_mov_b32 v16, s3 :: v_dual_mov_b32 v15, s2
	v_dual_mov_b32 v20, s3 :: v_dual_mov_b32 v19, s2
	;; [unrolled: 1-line block ×4, first 2 shown]
	s_add_nc_u64 s[2:3], s[14:15], s[10:11]
                                        ; implicit-def: $vgpr10
                                        ; implicit-def: $vgpr12
                                        ; implicit-def: $vgpr26
                                        ; implicit-def: $vgpr24
                                        ; implicit-def: $vgpr22
	s_wait_alu 0xfffe
	s_xor_b32 exec_lo, exec_lo, s1
	s_cbranch_execz .LBB0_12
; %bb.11:
	s_add_nc_u64 s[10:11], s[12:13], s[10:11]
	s_load_b64 s[10:11], s[10:11], 0x0
	s_wait_kmcnt 0x0
	v_mul_lo_u32 v3, s11, v4
	v_mul_lo_u32 v12, s10, v5
	v_mad_co_u64_u32 v[10:11], null, s10, v4, 0
	s_delay_alu instid0(VALU_DEP_1) | instskip(SKIP_2) | instid1(VALU_DEP_3)
	v_add3_u32 v11, v11, v12, v3
	v_mul_u32_u24_e32 v3, 33, v7
	v_lshlrev_b64_e32 v[7:8], 3, v[8:9]
	v_lshlrev_b64_e32 v[10:11], 3, v[10:11]
	s_delay_alu instid0(VALU_DEP_3) | instskip(NEXT) | instid1(VALU_DEP_2)
	v_sub_nc_u32_e32 v3, v0, v3
	v_add_co_u32 v0, s0, s4, v10
	s_wait_alu 0xf1ff
	s_delay_alu instid0(VALU_DEP_3) | instskip(NEXT) | instid1(VALU_DEP_3)
	v_add_co_ci_u32_e64 v9, s0, s5, v11, s0
	v_lshlrev_b32_e32 v10, 3, v3
	s_delay_alu instid0(VALU_DEP_3) | instskip(SKIP_1) | instid1(VALU_DEP_3)
	v_add_co_u32 v0, s0, v0, v7
	s_wait_alu 0xf1ff
	v_add_co_ci_u32_e64 v8, s0, v9, v8, s0
	s_delay_alu instid0(VALU_DEP_2) | instskip(SKIP_1) | instid1(VALU_DEP_2)
	v_add_co_u32 v7, s0, v0, v10
	s_wait_alu 0xf1ff
	v_add_co_ci_u32_e64 v8, s0, 0, v8, s0
	s_clause 0x8
	global_load_b64 v[9:10], v[7:8], off
	global_load_b64 v[15:16], v[7:8], off offset:264
	global_load_b64 v[19:20], v[7:8], off offset:528
	;; [unrolled: 1-line block ×8, first 2 shown]
.LBB0_12:
	s_or_b32 exec_lo, exec_lo, s1
	v_mul_hi_u32 v0, 0x24924925, v6
	s_wait_loadcnt 0x1
	v_dual_add_f32 v27, v23, v19 :: v_dual_add_f32 v28, v24, v20
	v_dual_sub_f32 v19, v19, v23 :: v_dual_sub_f32 v20, v20, v24
	s_wait_loadcnt 0x0
	v_dual_add_f32 v7, v25, v15 :: v_dual_add_f32 v8, v26, v16
	v_dual_sub_f32 v15, v15, v25 :: v_dual_sub_f32 v16, v16, v26
	v_sub_nc_u32_e32 v31, v6, v0
	s_delay_alu instid0(VALU_DEP_3) | instskip(SKIP_1) | instid1(VALU_DEP_3)
	v_dual_fmamk_f32 v25, v7, 0x3f441b7d, v9 :: v_dual_fmamk_f32 v26, v8, 0x3f441b7d, v10
	v_dual_add_f32 v29, v21, v17 :: v_dual_add_f32 v30, v22, v18
	v_lshrrev_b32_e32 v23, 1, v31
	s_delay_alu instid0(VALU_DEP_3) | instskip(SKIP_1) | instid1(VALU_DEP_3)
	v_dual_fmac_f32 v25, 0x3e31d0d4, v27 :: v_dual_fmac_f32 v26, 0x3e31d0d4, v28
	v_dual_sub_f32 v17, v17, v21 :: v_dual_sub_f32 v18, v18, v22
	v_dual_mul_f32 v23, 0x3f7c1c5c, v19 :: v_dual_add_nc_u32 v0, v23, v0
	v_dual_sub_f32 v21, v13, v11 :: v_dual_sub_f32 v22, v14, v12
	v_dual_mul_f32 v24, 0x3f7c1c5c, v20 :: v_dual_add_f32 v31, v11, v13
	s_delay_alu instid0(VALU_DEP_3) | instskip(SKIP_1) | instid1(VALU_DEP_3)
	v_lshrrev_b32_e32 v0, 2, v0
	v_dual_fmac_f32 v25, -0.5, v29 :: v_dual_fmac_f32 v26, -0.5, v30
	v_dual_fmac_f32 v23, 0x3f248dbb, v15 :: v_dual_fmac_f32 v24, 0x3f248dbb, v16
	s_delay_alu instid0(VALU_DEP_3) | instskip(SKIP_1) | instid1(VALU_DEP_3)
	v_mul_lo_u32 v0, v0, 7
	v_dual_mul_f32 v32, 0xbf248dbb, v21 :: v_dual_mul_f32 v33, 0xbf248dbb, v22
	v_dual_fmac_f32 v23, 0x3f5db3d7, v17 :: v_dual_fmac_f32 v24, 0x3f5db3d7, v18
	v_add_f32_e32 v37, v16, v22
	v_fmac_f32_e32 v25, 0xbf708fb2, v31
	s_delay_alu instid0(VALU_DEP_4)
	v_dual_fmac_f32 v32, 0x3f7c1c5c, v15 :: v_dual_fmac_f32 v33, 0x3f7c1c5c, v16
	v_sub_nc_u32_e32 v0, v6, v0
	v_add_f32_e32 v6, v12, v14
	v_fmamk_f32 v34, v31, 0x3f441b7d, v9
	v_dual_fmac_f32 v23, 0x3eaf1d44, v21 :: v_dual_fmac_f32 v24, 0x3eaf1d44, v22
	v_dual_fmac_f32 v32, 0xbf5db3d7, v17 :: v_dual_fmac_f32 v33, 0xbf5db3d7, v18
	s_delay_alu instid0(VALU_DEP_4) | instskip(NEXT) | instid1(VALU_DEP_4)
	v_fmamk_f32 v35, v6, 0x3f441b7d, v10
	v_fmac_f32_e32 v34, 0x3e31d0d4, v7
	s_delay_alu instid0(VALU_DEP_4) | instskip(NEXT) | instid1(VALU_DEP_4)
	v_dual_fmac_f32 v26, 0xbf708fb2, v6 :: v_dual_sub_f32 v25, v25, v24
	v_fmac_f32_e32 v32, 0x3eaf1d44, v19
	s_delay_alu instid0(VALU_DEP_3) | instskip(NEXT) | instid1(VALU_DEP_3)
	v_dual_fmac_f32 v35, 0x3e31d0d4, v8 :: v_dual_fmac_f32 v34, -0.5, v29
	v_dual_add_f32 v26, v23, v26 :: v_dual_fmac_f32 v33, 0x3eaf1d44, v20
	v_dual_add_f32 v38, v7, v27 :: v_dual_sub_f32 v37, v37, v20
	s_delay_alu instid0(VALU_DEP_3) | instskip(SKIP_1) | instid1(VALU_DEP_2)
	v_dual_fmac_f32 v35, -0.5, v30 :: v_dual_fmac_f32 v34, 0xbf708fb2, v27
	v_dual_add_f32 v36, v15, v21 :: v_dual_add_f32 v39, v8, v28
	v_dual_add_f32 v40, v38, v29 :: v_dual_fmac_f32 v35, 0xbf708fb2, v28
	s_delay_alu instid0(VALU_DEP_3) | instskip(NEXT) | instid1(VALU_DEP_3)
	v_sub_f32_e32 v34, v34, v33
	v_dual_sub_f32 v36, v36, v19 :: v_dual_mul_f32 v43, 0x3f5db3d7, v37
	s_delay_alu instid0(VALU_DEP_3) | instskip(NEXT) | instid1(VALU_DEP_4)
	v_add_f32_e32 v13, v40, v13
	v_dual_add_f32 v35, v32, v35 :: v_dual_add_f32 v40, v9, v29
	s_delay_alu instid0(VALU_DEP_3) | instskip(NEXT) | instid1(VALU_DEP_3)
	v_dual_mul_f32 v42, 0x3f5db3d7, v36 :: v_dual_add_f32 v45, v10, v30
	v_add_f32_e32 v11, v11, v13
	s_delay_alu instid0(VALU_DEP_3)
	v_fma_f32 v41, -2.0, v32, v35
	v_add_f32_e32 v32, v39, v30
	v_add_f32_e32 v13, v39, v6
	v_mul_u32_u24_e32 v0, 0x129, v0
	v_add_f32_e32 v11, v9, v11
	v_fma_f32 v33, 2.0, v33, v34
	v_add_f32_e32 v14, v32, v14
	v_dual_add_f32 v32, v38, v31 :: v_dual_fmac_f32 v45, -0.5, v13
	v_fma_f32 v24, 2.0, v24, v25
	s_load_b64 s[2:3], s[2:3], 0x0
	s_delay_alu instid0(VALU_DEP_3) | instskip(SKIP_3) | instid1(VALU_DEP_4)
	v_dual_add_f32 v12, v12, v14 :: v_dual_fmac_f32 v9, 0x3f441b7d, v27
	v_fma_f32 v23, -2.0, v23, v26
	v_cmp_gt_u32_e64 s0, 27, v3
	v_fmac_f32_e32 v45, 0x3f5db3d7, v36
	v_fmac_f32_e32 v9, 0x3e31d0d4, v31
	s_delay_alu instid0(VALU_DEP_1) | instskip(NEXT) | instid1(VALU_DEP_1)
	v_fmac_f32_e32 v9, -0.5, v29
	v_fmac_f32_e32 v9, 0xbf708fb2, v7
	v_dual_mul_f32 v14, 0x3f7c1c5c, v21 :: v_dual_mul_f32 v21, 0x3f7c1c5c, v22
	v_add_f32_e32 v22, v10, v12
	v_fmac_f32_e32 v10, 0x3f441b7d, v28
	v_fmac_f32_e32 v40, -0.5, v32
	s_delay_alu instid0(VALU_DEP_4) | instskip(SKIP_1) | instid1(VALU_DEP_4)
	v_fma_f32 v12, 0xbf248dbb, v20, -v21
	v_add_nc_u16 v20, v3, 0x42
	v_fmac_f32_e32 v10, 0x3e31d0d4, v6
	v_lshlrev_b32_e32 v6, 2, v0
	v_fmac_f32_e32 v40, 0xbf5db3d7, v37
	v_fmac_f32_e32 v12, 0x3f5db3d7, v18
	s_delay_alu instid0(VALU_DEP_4) | instskip(NEXT) | instid1(VALU_DEP_4)
	v_fmac_f32_e32 v10, -0.5, v30
	v_add_nc_u32_e32 v0, 0, v6
	s_delay_alu instid0(VALU_DEP_3) | instskip(NEXT) | instid1(VALU_DEP_3)
	v_fmac_f32_e32 v12, 0x3eaf1d44, v16
	v_fmac_f32_e32 v10, 0xbf708fb2, v8
	s_delay_alu instid0(VALU_DEP_3) | instskip(SKIP_1) | instid1(VALU_DEP_4)
	v_mad_u32_u24 v13, v3, 36, v0
	v_fma_f32 v8, 2.0, v43, v40
	v_sub_f32_e32 v7, v9, v12
	v_fma_f32 v14, 0xbf248dbb, v19, -v14
	s_delay_alu instid0(VALU_DEP_2)
	v_fma_f32 v9, 2.0, v12, v7
	ds_store_2addr_b32 v13, v11, v25 offset1:1
	ds_store_2addr_b32 v13, v34, v40 offset0:2 offset1:3
	ds_store_2addr_b32 v13, v7, v9 offset0:4 offset1:5
	;; [unrolled: 1-line block ×3, first 2 shown]
	ds_store_b32 v13, v24 offset:32
	v_lshlrev_b32_e32 v7, 5, v3
	v_and_b32_e32 v8, 0xff, v3
	v_fmac_f32_e32 v14, 0x3f5db3d7, v17
	v_lshl_add_u32 v24, v3, 2, v0
	v_add_nc_u16 v11, v3, 33
	v_sub_nc_u32_e32 v0, v13, v7
	v_mul_lo_u16 v16, v8, 57
	global_wb scope:SCOPE_SE
	s_wait_dscnt 0x0
	s_wait_kmcnt 0x0
	s_barrier_signal -1
	s_barrier_wait -1
	global_inv scope:SCOPE_SE
	ds_load_b32 v7, v24
	ds_load_2addr_b32 v[18:19], v0 offset0:99 offset1:132
	ds_load_2addr_b32 v[32:33], v0 offset0:165 offset1:198
	v_fmac_f32_e32 v14, 0x3eaf1d44, v15
	v_and_b32_e32 v17, 0xff, v11
	v_lshrrev_b16 v21, 9, v16
	v_add_nc_u32_e32 v12, 0x200, v0
	v_fma_f32 v15, -2.0, v42, v45
	v_add_f32_e32 v10, v14, v10
	v_mul_lo_u16 v16, v17, 57
	v_and_b32_e32 v17, 0xff, v20
	v_mul_lo_u16 v25, v21, 9
	ds_load_2addr_b32 v[8:9], v0 offset0:33 offset1:66
	ds_load_2addr_b32 v[43:44], v12 offset0:103 offset1:136
	v_fma_f32 v14, -2.0, v14, v10
	v_lshrrev_b16 v27, 9, v16
	v_mul_lo_u16 v16, v17, 57
	v_sub_nc_u16 v17, v3, v25
	global_wb scope:SCOPE_SE
	s_wait_dscnt 0x0
	s_barrier_signal -1
	s_barrier_wait -1
	global_inv scope:SCOPE_SE
	ds_store_2addr_b32 v13, v22, v26 offset1:1
	ds_store_2addr_b32 v13, v35, v45 offset0:2 offset1:3
	ds_store_2addr_b32 v13, v10, v14 offset0:4 offset1:5
	;; [unrolled: 1-line block ×3, first 2 shown]
	ds_store_b32 v13, v23 offset:32
	v_and_b32_e32 v13, 0xff, v17
	v_lshrrev_b16 v28, 9, v16
	global_wb scope:SCOPE_SE
	s_wait_dscnt 0x0
	s_barrier_signal -1
	s_barrier_wait -1
	v_lshlrev_b32_e32 v14, 4, v13
	global_inv scope:SCOPE_SE
	v_mul_lo_u16 v25, v27, 9
	v_mul_lo_u16 v10, v28, 9
	v_lshlrev_b32_e32 v13, 2, v13
	global_load_b128 v[14:17], v14, s[8:9]
	v_sub_nc_u16 v11, v11, v25
	v_sub_nc_u16 v10, v20, v10
	s_delay_alu instid0(VALU_DEP_2) | instskip(NEXT) | instid1(VALU_DEP_2)
	v_and_b32_e32 v11, 0xff, v11
	v_and_b32_e32 v10, 0xff, v10
	s_delay_alu instid0(VALU_DEP_2) | instskip(NEXT) | instid1(VALU_DEP_2)
	v_lshlrev_b32_e32 v20, 4, v11
	v_lshlrev_b32_e32 v22, 4, v10
	s_clause 0x1
	global_load_b128 v[35:38], v20, s[8:9]
	global_load_b128 v[39:42], v22, s[8:9]
	ds_load_2addr_b32 v[45:46], v0 offset0:99 offset1:132
	v_and_b32_e32 v20, 0xffff, v21
	v_and_b32_e32 v21, 0xffff, v27
	ds_load_2addr_b32 v[47:48], v0 offset0:165 offset1:198
	v_and_b32_e32 v22, 0xffff, v28
	v_mad_u32_u24 v20, 0x6c, v20, 0
	s_delay_alu instid0(VALU_DEP_2) | instskip(SKIP_4) | instid1(VALU_DEP_3)
	v_mad_u32_u24 v22, 0x6c, v22, 0
	s_wait_loadcnt_dscnt 0x200
	v_dual_mul_f32 v27, v45, v15 :: v_dual_mul_f32 v34, v48, v17
	v_lshlrev_b32_e32 v11, 2, v11
	v_add3_u32 v29, v20, v13, v6
	v_fmac_f32_e32 v27, v18, v14
	ds_load_2addr_b32 v[49:50], v12 offset0:103 offset1:136
	v_fmac_f32_e32 v34, v33, v16
	s_wait_loadcnt 0x1
	v_mul_f32_e32 v26, v43, v38
	v_mad_u32_u24 v21, 0x6c, v21, 0
	s_delay_alu instid0(VALU_DEP_1) | instskip(SKIP_4) | instid1(VALU_DEP_3)
	v_add3_u32 v28, v21, v11, v6
	v_mul_f32_e32 v21, v46, v36
	s_wait_dscnt 0x0
	v_mul_f32_e32 v23, v49, v38
	v_fma_f32 v31, v49, v37, -v26
	v_fmac_f32_e32 v21, v19, v35
	s_delay_alu instid0(VALU_DEP_3) | instskip(NEXT) | instid1(VALU_DEP_1)
	v_dual_fmac_f32 v23, v43, v37 :: v_dual_lshlrev_b32 v10, 2, v10
	v_add3_u32 v25, v22, v10, v6
	v_dual_mul_f32 v6, v18, v15 :: v_dual_mul_f32 v15, v33, v17
	s_delay_alu instid0(VALU_DEP_3)
	v_dual_mul_f32 v17, v19, v36 :: v_dual_add_f32 v18, v21, v23
	ds_load_b32 v13, v24
	ds_load_2addr_b32 v[10:11], v0 offset0:33 offset1:66
	v_fma_f32 v36, v45, v14, -v6
	v_fma_f32 v20, v48, v16, -v15
	v_add_f32_e32 v14, v27, v34
	v_fma_f32 v35, v46, v35, -v17
	v_dual_add_f32 v6, v7, v27 :: v_dual_add_f32 v15, v8, v21
	s_delay_alu instid0(VALU_DEP_4) | instskip(NEXT) | instid1(VALU_DEP_4)
	v_sub_f32_e32 v17, v36, v20
	v_fmac_f32_e32 v7, -0.5, v14
	s_wait_loadcnt 0x0
	v_mul_f32_e32 v30, v50, v42
	v_dual_add_f32 v26, v6, v34 :: v_dual_sub_f32 v19, v35, v31
	v_fma_f32 v14, -0.5, v18, v8
	v_fmamk_f32 v6, v17, 0xbf5db3d7, v7
	v_fmac_f32_e32 v7, 0x3f5db3d7, v17
	v_fmac_f32_e32 v30, v44, v41
	v_mul_f32_e32 v22, v47, v40
	v_fmamk_f32 v17, v19, 0xbf5db3d7, v14
	v_add_f32_e32 v16, v15, v23
	v_fmac_f32_e32 v14, 0x3f5db3d7, v19
	global_wb scope:SCOPE_SE
	s_wait_dscnt 0x0
	v_fmac_f32_e32 v22, v32, v39
	v_mul_f32_e32 v38, v32, v40
	v_mul_f32_e32 v40, v44, v42
	s_barrier_signal -1
	s_barrier_wait -1
	v_add_f32_e32 v37, v9, v22
	v_fma_f32 v33, v47, v39, -v38
	v_fma_f32 v32, v50, v41, -v40
	v_add_f32_e32 v38, v22, v30
	global_inv scope:SCOPE_SE
                                        ; implicit-def: $vgpr19
	v_sub_f32_e32 v39, v33, v32
	v_fmac_f32_e32 v9, -0.5, v38
	s_delay_alu instid0(VALU_DEP_1)
	v_fmamk_f32 v8, v39, 0xbf5db3d7, v9
	v_fmac_f32_e32 v9, 0x3f5db3d7, v39
	v_add_f32_e32 v15, v37, v30
	ds_store_2addr_b32 v29, v26, v6 offset1:9
	ds_store_b32 v29, v7 offset:72
	ds_store_2addr_b32 v28, v16, v17 offset1:9
	ds_store_b32 v28, v14 offset:72
	;; [unrolled: 2-line block ×3, first 2 shown]
	global_wb scope:SCOPE_SE
	s_wait_dscnt 0x0
	s_barrier_signal -1
	s_barrier_wait -1
	global_inv scope:SCOPE_SE
	s_and_saveexec_b32 s1, s0
	s_cbranch_execz .LBB0_14
; %bb.13:
	ds_load_b32 v26, v24
	ds_load_2addr_b32 v[6:7], v0 offset0:27 offset1:54
	ds_load_2addr_b32 v[16:17], v0 offset0:81 offset1:108
	;; [unrolled: 1-line block ×5, first 2 shown]
.LBB0_14:
	s_wait_alu 0xfffe
	s_or_b32 exec_lo, exec_lo, s1
	v_dual_add_f32 v12, v36, v20 :: v_dual_add_f32 v37, v35, v31
	v_dual_add_f32 v36, v13, v36 :: v_dual_add_f32 v35, v10, v35
	s_delay_alu instid0(VALU_DEP_2) | instskip(SKIP_1) | instid1(VALU_DEP_3)
	v_dual_sub_f32 v34, v27, v34 :: v_dual_fmac_f32 v13, -0.5, v12
	v_add_f32_e32 v38, v33, v32
	v_add_f32_e32 v27, v36, v20
	v_fma_f32 v20, -0.5, v37, v10
	v_dual_sub_f32 v10, v21, v23 :: v_dual_add_f32 v21, v11, v33
	v_fmamk_f32 v12, v34, 0x3f5db3d7, v13
	v_fmac_f32_e32 v13, 0xbf5db3d7, v34
	v_fmac_f32_e32 v11, -0.5, v38
	s_delay_alu instid0(VALU_DEP_4) | instskip(SKIP_2) | instid1(VALU_DEP_3)
	v_dual_sub_f32 v30, v22, v30 :: v_dual_add_f32 v21, v21, v32
	v_dual_add_f32 v22, v35, v31 :: v_dual_fmamk_f32 v23, v10, 0x3f5db3d7, v20
	v_fmac_f32_e32 v20, 0xbf5db3d7, v10
	v_fmamk_f32 v10, v30, 0x3f5db3d7, v11
	v_fmac_f32_e32 v11, 0xbf5db3d7, v30
	global_wb scope:SCOPE_SE
	s_wait_dscnt 0x0
	s_barrier_signal -1
	s_barrier_wait -1
	global_inv scope:SCOPE_SE
	ds_store_2addr_b32 v29, v27, v12 offset1:9
	ds_store_b32 v29, v13 offset:72
	ds_store_2addr_b32 v28, v22, v23 offset1:9
	ds_store_b32 v28, v20 offset:72
	;; [unrolled: 2-line block ×3, first 2 shown]
	global_wb scope:SCOPE_SE
	s_wait_dscnt 0x0
	s_barrier_signal -1
	s_barrier_wait -1
	global_inv scope:SCOPE_SE
                                        ; implicit-def: $vgpr25
	s_and_saveexec_b32 s1, s0
	s_cbranch_execz .LBB0_16
; %bb.15:
	ds_load_b32 v27, v24
	v_add_nc_u32_e32 v24, 0x200, v0
	ds_load_2addr_b32 v[12:13], v0 offset0:27 offset1:54
	ds_load_2addr_b32 v[22:23], v0 offset0:81 offset1:108
	;; [unrolled: 1-line block ×5, first 2 shown]
.LBB0_16:
	s_wait_alu 0xfffe
	s_or_b32 exec_lo, exec_lo, s1
	v_cmp_gt_u32_e64 s1, 27, v3
	s_delay_alu instid0(VALU_DEP_1)
	s_and_b32 s1, vcc_lo, s1
	s_wait_alu 0xfffe
	s_and_saveexec_b32 s4, s1
	s_cbranch_execz .LBB0_18
; %bb.17:
	v_subrev_nc_u32_e32 v0, 27, v3
	v_mov_b32_e32 v29, 0
	s_delay_alu instid0(VALU_DEP_2) | instskip(NEXT) | instid1(VALU_DEP_1)
	v_cndmask_b32_e64 v0, v0, v3, s0
	v_mul_i32_i24_e32 v28, 10, v0
	v_mul_lo_u32 v0, s3, v4
	s_delay_alu instid0(VALU_DEP_2) | instskip(SKIP_2) | instid1(VALU_DEP_3)
	v_lshlrev_b64_e32 v[30:31], 3, v[28:29]
	v_mul_lo_u32 v28, s2, v5
	v_mad_co_u64_u32 v[4:5], null, s2, v4, 0
	v_add_co_u32 v47, vcc_lo, s8, v30
	s_wait_alu 0xfffd
	s_delay_alu instid0(VALU_DEP_4) | instskip(NEXT) | instid1(VALU_DEP_3)
	v_add_co_ci_u32_e32 v48, vcc_lo, s9, v31, vcc_lo
	v_add3_u32 v5, v5, v28, v0
	v_lshlrev_b64_e32 v[0:1], 3, v[1:2]
	s_clause 0x4
	global_load_b128 v[31:34], v[47:48], off offset:208
	global_load_b128 v[35:38], v[47:48], off offset:144
	;; [unrolled: 1-line block ×5, first 2 shown]
	v_lshlrev_b64_e32 v[51:52], 3, v[4:5]
	s_delay_alu instid0(VALU_DEP_1) | instskip(SKIP_1) | instid1(VALU_DEP_2)
	v_add_co_u32 v5, vcc_lo, s6, v51
	s_wait_alu 0xfffd
	v_add_co_ci_u32_e32 v28, vcc_lo, s7, v52, vcc_lo
	s_delay_alu instid0(VALU_DEP_2) | instskip(SKIP_1) | instid1(VALU_DEP_2)
	v_add_co_u32 v0, vcc_lo, v5, v0
	s_wait_alu 0xfffd
	v_add_co_ci_u32_e32 v1, vcc_lo, v28, v1, vcc_lo
	s_wait_loadcnt 0x3
	v_mul_f32_e32 v5, v6, v36
	s_wait_dscnt 0x4
	v_mul_f32_e32 v36, v12, v36
	v_mov_b32_e32 v4, v29
	s_wait_loadcnt 0x1
	v_mul_f32_e32 v53, v17, v46
	s_wait_dscnt 0x3
	v_mul_f32_e32 v46, v23, v46
	v_mul_f32_e32 v51, v7, v38
	s_wait_dscnt 0x1
	v_dual_mul_f32 v38, v13, v38 :: v_dual_mul_f32 v29, v10, v40
	v_lshlrev_b64_e32 v[2:3], 3, v[3:4]
	s_wait_dscnt 0x0
	v_mul_f32_e32 v4, v24, v32
	v_fmac_f32_e32 v46, v17, v45
	v_fmac_f32_e32 v38, v7, v37
	v_fma_f32 v13, v13, v37, -v51
	v_fmac_f32_e32 v29, v8, v39
	v_add_co_u32 v0, vcc_lo, v0, v2
	s_wait_alu 0xfffd
	v_add_co_ci_u32_e32 v1, vcc_lo, v1, v3, vcc_lo
	v_mul_f32_e32 v3, v19, v34
	v_mul_f32_e32 v2, v25, v34
	;; [unrolled: 1-line block ×3, first 2 shown]
	v_fmac_f32_e32 v4, v18, v31
	v_mul_f32_e32 v28, v11, v42
	v_fma_f32 v12, v12, v35, -v5
	v_fmac_f32_e32 v36, v6, v35
	v_fma_f32 v5, v24, v31, -v34
	v_add_f32_e32 v31, v4, v38
	s_wait_loadcnt 0x0
	v_mul_f32_e32 v30, v21, v50
	v_fma_f32 v3, v25, v33, -v3
	v_dual_sub_f32 v17, v38, v4 :: v_dual_fmac_f32 v28, v9, v41
	v_dual_fmac_f32 v2, v19, v33 :: v_dual_add_f32 v33, v26, v36
	s_delay_alu instid0(VALU_DEP_4)
	v_fmac_f32_e32 v30, v15, v49
	v_mul_f32_e32 v54, v14, v48
	v_mul_f32_e32 v48, v20, v48
	;; [unrolled: 1-line block ×3, first 2 shown]
	v_fma_f32 v9, v23, v45, -v53
	v_sub_f32_e32 v25, v12, v3
	s_delay_alu instid0(VALU_DEP_4) | instskip(SKIP_2) | instid1(VALU_DEP_4)
	v_fmac_f32_e32 v48, v14, v47
	v_add_f32_e32 v14, v3, v12
	v_fma_f32 v6, v11, v41, -v32
	v_mul_f32_e32 v63, 0xbf7d64f0, v25
	s_delay_alu instid0(VALU_DEP_3) | instskip(SKIP_3) | instid1(VALU_DEP_3)
	v_dual_mul_f32 v51, 0xbf27a4f4, v14 :: v_dual_mul_f32 v52, v16, v44
	v_dual_mul_f32 v42, v8, v40 :: v_dual_add_f32 v37, v29, v46
	v_mul_f32_e32 v40, v15, v50
	v_dual_mul_f32 v44, v22, v44 :: v_dual_sub_f32 v15, v36, v2
	v_fma_f32 v7, v10, v39, -v42
	v_mul_f32_e32 v56, 0xbf4178ce, v25
	s_delay_alu instid0(VALU_DEP_4) | instskip(SKIP_2) | instid1(VALU_DEP_1)
	v_fma_f32 v8, v21, v49, -v40
	v_sub_f32_e32 v21, v46, v29
	v_fma_f32 v11, v22, v43, -v52
	v_dual_mul_f32 v49, 0xbe903f40, v25 :: v_dual_add_f32 v18, v6, v11
	s_delay_alu instid0(VALU_DEP_1) | instskip(SKIP_2) | instid1(VALU_DEP_1)
	v_dual_sub_f32 v32, v13, v5 :: v_dual_mul_f32 v53, 0x3f575c64, v18
	v_sub_f32_e32 v23, v48, v30
	v_fma_f32 v10, v20, v47, -v54
	v_dual_mul_f32 v57, 0x3f7d64f0, v32 :: v_dual_add_f32 v22, v8, v10
	v_sub_f32_e32 v39, v10, v8
	s_delay_alu instid0(VALU_DEP_2) | instskip(SKIP_1) | instid1(VALU_DEP_4)
	v_dual_add_f32 v40, v30, v48 :: v_dual_fmamk_f32 v95, v31, 0xbe11bafb, v57
	v_fma_f32 v57, 0xbe11bafb, v31, -v57
	v_dual_mul_f32 v55, 0x3ed4b147, v22 :: v_dual_add_f32 v20, v7, v9
	v_dual_mul_f32 v65, 0x3ed4b147, v14 :: v_dual_fmac_f32 v44, v16, v43
	v_dual_add_f32 v16, v5, v13 :: v_dual_mul_f32 v41, 0xbf75a155, v14
	s_delay_alu instid0(VALU_DEP_3) | instskip(SKIP_1) | instid1(VALU_DEP_3)
	v_mul_f32_e32 v61, 0x3f575c64, v20
	v_dual_add_f32 v12, v27, v12 :: v_dual_mul_f32 v69, 0x3f575c64, v22
	v_mul_f32_e32 v59, 0xbf75a155, v16
	v_mul_f32_e32 v67, 0xbf75a155, v18
	v_dual_sub_f32 v34, v11, v6 :: v_dual_mul_f32 v71, 0xbf4178ce, v32
	v_mul_f32_e32 v45, 0x3ed4b147, v20
	v_mul_f32_e32 v47, 0xbe11bafb, v22
	v_add_f32_e32 v35, v28, v44
	v_add_f32_e32 v24, v2, v36
	v_sub_f32_e32 v36, v9, v7
	v_mul_f32_e32 v62, 0xbf27a4f4, v22
	v_dual_mul_f32 v64, 0x3e903f40, v32 :: v_dual_mul_f32 v73, 0x3e903f40, v34
	v_dual_mul_f32 v70, 0xbf68dda4, v25 :: v_dual_fmamk_f32 v85, v21, 0xbf68dda4, v45
	v_mul_f32_e32 v72, 0xbf75a155, v22
	v_mul_f32_e32 v22, 0xbf0a6770, v25
	v_dual_mul_f32 v25, 0xbf68dda4, v32 :: v_dual_add_f32 v12, v12, v13
	v_mul_f32_e32 v75, 0xbe903f40, v36
	v_dual_mul_f32 v60, 0x3ed4b147, v18 :: v_dual_sub_f32 v19, v44, v28
	v_dual_mul_f32 v54, 0xbf75a155, v20 :: v_dual_fmamk_f32 v87, v24, 0xbf75a155, v49
	s_delay_alu instid0(VALU_DEP_4) | instskip(SKIP_2) | instid1(VALU_DEP_3)
	v_dual_add_f32 v11, v12, v11 :: v_dual_mul_f32 v66, 0xbf27a4f4, v16
	v_dual_mul_f32 v58, 0xbe11bafb, v14 :: v_dual_fmamk_f32 v101, v24, 0xbe11bafb, v63
	v_dual_add_f32 v13, v33, v38 :: v_dual_fmamk_f32 v82, v15, 0x3e903f40, v41
	v_add_f32_e32 v9, v11, v9
	s_delay_alu instid0(VALU_DEP_4)
	v_dual_fmamk_f32 v89, v15, 0x3f4178ce, v51 :: v_dual_fmamk_f32 v104, v17, 0x3f4178ce, v66
	v_fmac_f32_e32 v41, 0xbe903f40, v15
	v_mul_f32_e32 v43, 0xbf27a4f4, v18
	v_dual_mul_f32 v50, 0x3f0a6770, v32 :: v_dual_mul_f32 v81, 0x3f0a6770, v39
	v_mul_f32_e32 v52, 0xbe11bafb, v16
	v_mul_f32_e32 v14, 0x3f575c64, v14
	;; [unrolled: 1-line block ×5, first 2 shown]
	v_dual_mul_f32 v74, 0x3f68dda4, v36 :: v_dual_fmamk_f32 v103, v15, 0x3f68dda4, v65
	v_mul_f32_e32 v16, 0x3ed4b147, v16
	v_dual_mul_f32 v77, 0x3f7d64f0, v36 :: v_dual_fmamk_f32 v86, v23, 0x3f7d64f0, v47
	v_mul_f32_e32 v68, 0xbe11bafb, v20
	v_dual_mul_f32 v78, 0xbf7d64f0, v39 :: v_dual_add_f32 v41, v27, v41
	v_mul_f32_e32 v18, 0xbe11bafb, v18
	v_dual_fmamk_f32 v98, v19, 0xbf68dda4, v60 :: v_dual_fmac_f32 v65, 0xbf68dda4, v15
	v_dual_fmamk_f32 v105, v19, 0xbe903f40, v67 :: v_dual_add_f32 v12, v13, v44
	v_mul_f32_e32 v20, 0xbf27a4f4, v20
	v_fmac_f32_e32 v51, 0xbf4178ce, v15
	v_fma_f32 v49, 0xbf75a155, v24, -v49
	v_fmamk_f32 v96, v15, 0x3f7d64f0, v58
	v_dual_mul_f32 v38, 0x3f68dda4, v34 :: v_dual_mul_f32 v79, 0x3f68dda4, v39
	v_dual_mul_f32 v34, 0xbf7d64f0, v34 :: v_dual_fmac_f32 v47, 0xbf7d64f0, v23
	v_dual_mul_f32 v76, 0xbf0a6770, v36 :: v_dual_fmamk_f32 v83, v17, 0xbf0a6770, v42
	v_dual_mul_f32 v80, 0xbf4178ce, v39 :: v_dual_add_f32 v65, v27, v65
	v_mul_f32_e32 v39, 0xbe903f40, v39
	v_dual_fmamk_f32 v90, v17, 0xbf7d64f0, v52 :: v_dual_add_f32 v51, v27, v51
	v_dual_fmamk_f32 v91, v19, 0x3f0a6770, v53 :: v_dual_fmac_f32 v42, 0x3f0a6770, v17
	v_fmamk_f32 v92, v21, 0x3e903f40, v54
	v_fmamk_f32 v93, v23, 0xbf68dda4, v55
	;; [unrolled: 1-line block ×3, first 2 shown]
	v_dual_fmamk_f32 v102, v31, 0xbf75a155, v64 :: v_dual_fmamk_f32 v113, v37, 0xbf75a155, v75
	v_fmamk_f32 v108, v24, 0x3ed4b147, v70
	v_dual_fmac_f32 v66, 0xbf4178ce, v17 :: v_dual_add_f32 v9, v9, v10
	v_dual_fmac_f32 v60, 0x3f68dda4, v19 :: v_dual_fmac_f32 v45, 0x3f68dda4, v21
	v_fmac_f32_e32 v54, 0xbe903f40, v21
	v_fmac_f32_e32 v61, 0xbf0a6770, v21
	v_fma_f32 v63, 0xbe11bafb, v24, -v63
	v_fma_f32 v70, 0x3ed4b147, v24, -v70
	v_fmac_f32_e32 v55, 0x3f68dda4, v23
	v_fmamk_f32 v110, v31, 0x3ed4b147, v25
	v_fmac_f32_e32 v58, 0xbf7d64f0, v15
	v_fmac_f32_e32 v53, 0xbf0a6770, v19
	v_fmamk_f32 v111, v35, 0xbf75a155, v73
	v_fmamk_f32 v97, v17, 0xbe903f40, v59
	v_fmac_f32_e32 v59, 0x3e903f40, v17
	v_fmamk_f32 v115, v37, 0xbe11bafb, v77
	v_fmamk_f32 v106, v21, 0xbf7d64f0, v68
	;; [unrolled: 1-line block ×5, first 2 shown]
	v_fmac_f32_e32 v14, 0xbf0a6770, v15
	v_fmac_f32_e32 v67, 0x3e903f40, v19
	;; [unrolled: 1-line block ×3, first 2 shown]
	v_dual_add_f32 v11, v12, v46 :: v_dual_fmamk_f32 v84, v19, 0x3f4178ce, v43
	v_fmac_f32_e32 v43, 0xbf4178ce, v19
	v_fmamk_f32 v13, v35, 0xbf27a4f4, v32
	v_dual_fmamk_f32 v100, v23, 0x3f4178ce, v62 :: v_dual_add_f32 v63, v26, v63
	v_dual_fmac_f32 v62, 0xbf4178ce, v23 :: v_dual_add_f32 v49, v26, v49
	v_dual_fmamk_f32 v15, v17, 0x3f68dda4, v16 :: v_dual_add_f32 v46, v27, v96
	v_fmac_f32_e32 v52, 0x3f7d64f0, v17
	v_fmac_f32_e32 v16, 0xbf68dda4, v17
	v_fmamk_f32 v17, v19, 0x3f7d64f0, v18
	v_fmac_f32_e32 v18, 0xbf7d64f0, v19
	v_fmamk_f32 v19, v21, 0x3f4178ce, v20
	v_fmac_f32_e32 v68, 0x3f7d64f0, v21
	v_fmac_f32_e32 v20, 0xbf4178ce, v21
	v_fmamk_f32 v21, v23, 0x3e903f40, v72
	v_fmac_f32_e32 v72, 0xbe903f40, v23
	v_fmamk_f32 v23, v24, 0x3f575c64, v22
	v_mul_f32_e32 v36, 0xbf4178ce, v36
	v_fmamk_f32 v94, v24, 0xbf27a4f4, v56
	v_add_f32_e32 v10, v11, v48
	v_fma_f32 v56, 0xbf27a4f4, v24, -v56
	v_dual_add_f32 v23, v26, v23 :: v_dual_fmamk_f32 v88, v31, 0x3f575c64, v50
	v_fma_f32 v50, 0x3f575c64, v31, -v50
	v_fma_f32 v22, 0x3f575c64, v24, -v22
	v_fmamk_f32 v24, v31, 0xbf27a4f4, v71
	v_fma_f32 v64, 0xbf75a155, v31, -v64
	v_fma_f32 v71, 0xbf27a4f4, v31, -v71
	;; [unrolled: 1-line block ×4, first 2 shown]
	v_fmamk_f32 v32, v35, 0x3f575c64, v33
	v_fma_f32 v33, 0x3f575c64, v35, -v33
	v_dual_fmamk_f32 v44, v35, 0x3ed4b147, v38 :: v_dual_fmamk_f32 v117, v40, 0x3ed4b147, v79
	v_fma_f32 v38, 0x3ed4b147, v35, -v38
	v_fma_f32 v73, 0xbf75a155, v35, -v73
	;; [unrolled: 1-line block ×3, first 2 shown]
	v_fmamk_f32 v114, v37, 0x3f575c64, v76
	v_fma_f32 v76, 0x3f575c64, v37, -v76
	v_fma_f32 v77, 0xbe11bafb, v37, -v77
	v_fmamk_f32 v116, v37, 0xbf27a4f4, v36
	v_fma_f32 v36, 0xbf27a4f4, v37, -v36
	v_add_f32_e32 v11, v41, v42
	v_dual_add_f32 v41, v49, v50 :: v_dual_fmamk_f32 v112, v35, 0xbe11bafb, v34
	v_fma_f32 v34, 0xbe11bafb, v35, -v34
	v_fmamk_f32 v35, v37, 0x3ed4b147, v74
	v_fma_f32 v74, 0x3ed4b147, v37, -v74
	v_fmamk_f32 v37, v40, 0xbe11bafb, v78
	v_fma_f32 v78, 0xbe11bafb, v40, -v78
	v_dual_add_f32 v8, v8, v9 :: v_dual_add_f32 v9, v30, v10
	v_fma_f32 v79, 0x3ed4b147, v40, -v79
	v_fma_f32 v81, 0x3f575c64, v40, -v81
	v_add_f32_e32 v12, v27, v82
	v_add_f32_e32 v82, v27, v103
	v_add_f32_e32 v14, v27, v14
	v_add_f32_e32 v23, v23, v110
	v_add_f32_e32 v58, v27, v58
	v_fmamk_f32 v120, v40, 0xbf75a155, v39
	v_fma_f32 v39, 0xbf75a155, v40, -v39
	v_dual_add_f32 v29, v29, v9 :: v_dual_add_f32 v10, v11, v43
	v_dual_add_f32 v11, v41, v31 :: v_dual_fmamk_f32 v118, v40, 0xbf27a4f4, v80
	v_fma_f32 v80, 0xbf27a4f4, v40, -v80
	v_add_f32_e32 v40, v27, v89
	v_add_f32_e32 v89, v27, v109
	;; [unrolled: 1-line block ×9, first 2 shown]
	v_dual_add_f32 v12, v12, v83 :: v_dual_add_f32 v83, v94, v102
	v_add_f32_e32 v96, v26, v108
	v_add_f32_e32 v50, v63, v64
	v_dual_add_f32 v26, v27, v88 :: v_dual_add_f32 v27, v40, v90
	v_add_f32_e32 v40, v87, v95
	v_dual_add_f32 v15, v89, v15 :: v_dual_add_f32 v14, v14, v16
	v_add_f32_e32 v16, v22, v25
	s_delay_alu instid0(VALU_DEP_3) | instskip(NEXT) | instid1(VALU_DEP_3)
	v_dual_add_f32 v22, v27, v91 :: v_dual_add_f32 v25, v40, v32
	v_add_f32_e32 v15, v15, v17
	v_dual_add_f32 v17, v23, v112 :: v_dual_add_f32 v48, v56, v57
	v_add_f32_e32 v14, v14, v18
	s_delay_alu instid0(VALU_DEP_4) | instskip(SKIP_1) | instid1(VALU_DEP_4)
	v_add_f32_e32 v18, v22, v92
	v_add_f32_e32 v22, v25, v113
	v_dual_add_f32 v17, v17, v116 :: v_dual_add_f32 v30, v48, v33
	v_add_f32_e32 v27, v83, v44
	v_dual_add_f32 v82, v82, v104 :: v_dual_add_f32 v15, v15, v19
	s_delay_alu instid0(VALU_DEP_4) | instskip(SKIP_4) | instid1(VALU_DEP_4)
	v_add_f32_e32 v9, v22, v117
	v_add_f32_e32 v33, v50, v38
	;; [unrolled: 1-line block ×3, first 2 shown]
	v_dual_add_f32 v46, v46, v97 :: v_dual_add_f32 v19, v7, v8
	v_add_f32_e32 v31, v49, v60
	v_add_f32_e32 v33, v33, v76
	s_delay_alu instid0(VALU_DEP_3) | instskip(SKIP_3) | instid1(VALU_DEP_4)
	v_dual_add_f32 v13, v13, v35 :: v_dual_add_f32 v26, v46, v98
	v_add_f32_e32 v24, v96, v24
	v_add_f32_e32 v42, v51, v52
	;; [unrolled: 1-line block ×3, first 2 shown]
	v_dual_add_f32 v16, v16, v34 :: v_dual_add_f32 v25, v26, v99
	v_add_f32_e32 v26, v27, v114
	v_add_f32_e32 v24, v24, v111
	;; [unrolled: 1-line block ×3, first 2 shown]
	v_dual_add_f32 v12, v12, v84 :: v_dual_add_f32 v31, v31, v61
	s_delay_alu instid0(VALU_DEP_3) | instskip(SKIP_3) | instid1(VALU_DEP_4)
	v_dual_add_f32 v11, v26, v118 :: v_dual_add_f32 v24, v24, v115
	v_add_f32_e32 v7, v13, v37
	v_add_f32_e32 v51, v65, v66
	;; [unrolled: 1-line block ×3, first 2 shown]
	v_dual_add_f32 v32, v82, v105 :: v_dual_add_f32 v13, v24, v119
	v_add_f32_e32 v24, v6, v19
	s_delay_alu instid0(VALU_DEP_4) | instskip(SKIP_2) | instid1(VALU_DEP_4)
	v_add_f32_e32 v38, v51, v67
	v_add_f32_e32 v36, v16, v36
	v_dual_add_f32 v16, v15, v21 :: v_dual_add_f32 v15, v17, v120
	v_add_f32_e32 v26, v5, v24
	v_dual_add_f32 v12, v12, v85 :: v_dual_add_f32 v21, v33, v80
	v_add_f32_e32 v30, v30, v75
	s_delay_alu instid0(VALU_DEP_3) | instskip(NEXT) | instid1(VALU_DEP_3)
	v_dual_add_f32 v40, v52, v73 :: v_dual_add_f32 v3, v3, v26
	v_add_f32_e32 v8, v12, v86
	s_delay_alu instid0(VALU_DEP_3)
	v_dual_add_f32 v12, v25, v100 :: v_dual_add_f32 v19, v30, v79
	v_add_f32_e32 v25, v28, v29
	v_dual_add_f32 v27, v32, v106 :: v_dual_add_f32 v32, v10, v45
	v_add_f32_e32 v23, v23, v54
	;; [unrolled: 2-line block ×3, first 2 shown]
	v_add_f32_e32 v10, v18, v93
	v_add_f32_e32 v4, v4, v25
	v_dual_add_f32 v18, v32, v47 :: v_dual_add_f32 v17, v34, v78
	v_add_f32_e32 v20, v23, v55
	v_add_f32_e32 v14, v27, v107
	;; [unrolled: 1-line block ×4, first 2 shown]
	v_dual_add_f32 v5, v38, v81 :: v_dual_add_f32 v24, v40, v72
	v_dual_add_f32 v23, v36, v39 :: v_dual_add_f32 v2, v2, v4
	s_clause 0xa
	global_store_b64 v[0:1], v[9:10], off offset:864
	global_store_b64 v[0:1], v[7:8], off offset:1080
	;; [unrolled: 1-line block ×7, first 2 shown]
	global_store_b64 v[0:1], v[2:3], off
	global_store_b64 v[0:1], v[21:22], off offset:1728
	global_store_b64 v[0:1], v[5:6], off offset:1944
	;; [unrolled: 1-line block ×3, first 2 shown]
.LBB0_18:
	s_nop 0
	s_sendmsg sendmsg(MSG_DEALLOC_VGPRS)
	s_endpgm
	.section	.rodata,"a",@progbits
	.p2align	6, 0x0
	.amdhsa_kernel fft_rtc_back_len297_factors_9_3_11_wgs_231_tpt_33_halfLds_sp_op_CI_CI_unitstride_sbrr_dirReg
		.amdhsa_group_segment_fixed_size 0
		.amdhsa_private_segment_fixed_size 0
		.amdhsa_kernarg_size 104
		.amdhsa_user_sgpr_count 2
		.amdhsa_user_sgpr_dispatch_ptr 0
		.amdhsa_user_sgpr_queue_ptr 0
		.amdhsa_user_sgpr_kernarg_segment_ptr 1
		.amdhsa_user_sgpr_dispatch_id 0
		.amdhsa_user_sgpr_private_segment_size 0
		.amdhsa_wavefront_size32 1
		.amdhsa_uses_dynamic_stack 0
		.amdhsa_enable_private_segment 0
		.amdhsa_system_sgpr_workgroup_id_x 1
		.amdhsa_system_sgpr_workgroup_id_y 0
		.amdhsa_system_sgpr_workgroup_id_z 0
		.amdhsa_system_sgpr_workgroup_info 0
		.amdhsa_system_vgpr_workitem_id 0
		.amdhsa_next_free_vgpr 121
		.amdhsa_next_free_sgpr 39
		.amdhsa_reserve_vcc 1
		.amdhsa_float_round_mode_32 0
		.amdhsa_float_round_mode_16_64 0
		.amdhsa_float_denorm_mode_32 3
		.amdhsa_float_denorm_mode_16_64 3
		.amdhsa_fp16_overflow 0
		.amdhsa_workgroup_processor_mode 1
		.amdhsa_memory_ordered 1
		.amdhsa_forward_progress 0
		.amdhsa_round_robin_scheduling 0
		.amdhsa_exception_fp_ieee_invalid_op 0
		.amdhsa_exception_fp_denorm_src 0
		.amdhsa_exception_fp_ieee_div_zero 0
		.amdhsa_exception_fp_ieee_overflow 0
		.amdhsa_exception_fp_ieee_underflow 0
		.amdhsa_exception_fp_ieee_inexact 0
		.amdhsa_exception_int_div_zero 0
	.end_amdhsa_kernel
	.text
.Lfunc_end0:
	.size	fft_rtc_back_len297_factors_9_3_11_wgs_231_tpt_33_halfLds_sp_op_CI_CI_unitstride_sbrr_dirReg, .Lfunc_end0-fft_rtc_back_len297_factors_9_3_11_wgs_231_tpt_33_halfLds_sp_op_CI_CI_unitstride_sbrr_dirReg
                                        ; -- End function
	.section	.AMDGPU.csdata,"",@progbits
; Kernel info:
; codeLenInByte = 6276
; NumSgprs: 41
; NumVgprs: 121
; ScratchSize: 0
; MemoryBound: 0
; FloatMode: 240
; IeeeMode: 1
; LDSByteSize: 0 bytes/workgroup (compile time only)
; SGPRBlocks: 5
; VGPRBlocks: 15
; NumSGPRsForWavesPerEU: 41
; NumVGPRsForWavesPerEU: 121
; Occupancy: 10
; WaveLimiterHint : 1
; COMPUTE_PGM_RSRC2:SCRATCH_EN: 0
; COMPUTE_PGM_RSRC2:USER_SGPR: 2
; COMPUTE_PGM_RSRC2:TRAP_HANDLER: 0
; COMPUTE_PGM_RSRC2:TGID_X_EN: 1
; COMPUTE_PGM_RSRC2:TGID_Y_EN: 0
; COMPUTE_PGM_RSRC2:TGID_Z_EN: 0
; COMPUTE_PGM_RSRC2:TIDIG_COMP_CNT: 0
	.text
	.p2alignl 7, 3214868480
	.fill 96, 4, 3214868480
	.type	__hip_cuid_e601075920f16504,@object ; @__hip_cuid_e601075920f16504
	.section	.bss,"aw",@nobits
	.globl	__hip_cuid_e601075920f16504
__hip_cuid_e601075920f16504:
	.byte	0                               ; 0x0
	.size	__hip_cuid_e601075920f16504, 1

	.ident	"AMD clang version 19.0.0git (https://github.com/RadeonOpenCompute/llvm-project roc-6.4.0 25133 c7fe45cf4b819c5991fe208aaa96edf142730f1d)"
	.section	".note.GNU-stack","",@progbits
	.addrsig
	.addrsig_sym __hip_cuid_e601075920f16504
	.amdgpu_metadata
---
amdhsa.kernels:
  - .args:
      - .actual_access:  read_only
        .address_space:  global
        .offset:         0
        .size:           8
        .value_kind:     global_buffer
      - .offset:         8
        .size:           8
        .value_kind:     by_value
      - .actual_access:  read_only
        .address_space:  global
        .offset:         16
        .size:           8
        .value_kind:     global_buffer
      - .actual_access:  read_only
        .address_space:  global
        .offset:         24
        .size:           8
        .value_kind:     global_buffer
      - .actual_access:  read_only
        .address_space:  global
        .offset:         32
        .size:           8
        .value_kind:     global_buffer
      - .offset:         40
        .size:           8
        .value_kind:     by_value
      - .actual_access:  read_only
        .address_space:  global
        .offset:         48
        .size:           8
        .value_kind:     global_buffer
      - .actual_access:  read_only
        .address_space:  global
        .offset:         56
        .size:           8
        .value_kind:     global_buffer
      - .offset:         64
        .size:           4
        .value_kind:     by_value
      - .actual_access:  read_only
        .address_space:  global
        .offset:         72
        .size:           8
        .value_kind:     global_buffer
      - .actual_access:  read_only
        .address_space:  global
        .offset:         80
        .size:           8
        .value_kind:     global_buffer
      - .actual_access:  read_only
        .address_space:  global
        .offset:         88
        .size:           8
        .value_kind:     global_buffer
      - .actual_access:  write_only
        .address_space:  global
        .offset:         96
        .size:           8
        .value_kind:     global_buffer
    .group_segment_fixed_size: 0
    .kernarg_segment_align: 8
    .kernarg_segment_size: 104
    .language:       OpenCL C
    .language_version:
      - 2
      - 0
    .max_flat_workgroup_size: 231
    .name:           fft_rtc_back_len297_factors_9_3_11_wgs_231_tpt_33_halfLds_sp_op_CI_CI_unitstride_sbrr_dirReg
    .private_segment_fixed_size: 0
    .sgpr_count:     41
    .sgpr_spill_count: 0
    .symbol:         fft_rtc_back_len297_factors_9_3_11_wgs_231_tpt_33_halfLds_sp_op_CI_CI_unitstride_sbrr_dirReg.kd
    .uniform_work_group_size: 1
    .uses_dynamic_stack: false
    .vgpr_count:     121
    .vgpr_spill_count: 0
    .wavefront_size: 32
    .workgroup_processor_mode: 1
amdhsa.target:   amdgcn-amd-amdhsa--gfx1201
amdhsa.version:
  - 1
  - 2
...

	.end_amdgpu_metadata
